;; amdgpu-corpus repo=ROCm/rocFFT kind=compiled arch=gfx906 opt=O3
	.text
	.amdgcn_target "amdgcn-amd-amdhsa--gfx906"
	.amdhsa_code_object_version 6
	.protected	fft_rtc_fwd_len130_factors_13_10_wgs_52_tpt_13_dp_op_CI_CI_sbrr_dirReg ; -- Begin function fft_rtc_fwd_len130_factors_13_10_wgs_52_tpt_13_dp_op_CI_CI_sbrr_dirReg
	.globl	fft_rtc_fwd_len130_factors_13_10_wgs_52_tpt_13_dp_op_CI_CI_sbrr_dirReg
	.p2align	8
	.type	fft_rtc_fwd_len130_factors_13_10_wgs_52_tpt_13_dp_op_CI_CI_sbrr_dirReg,@function
fft_rtc_fwd_len130_factors_13_10_wgs_52_tpt_13_dp_op_CI_CI_sbrr_dirReg: ; @fft_rtc_fwd_len130_factors_13_10_wgs_52_tpt_13_dp_op_CI_CI_sbrr_dirReg
; %bb.0:
	s_load_dwordx4 s[16:19], s[4:5], 0x18
	s_load_dwordx4 s[12:15], s[4:5], 0x0
	;; [unrolled: 1-line block ×3, first 2 shown]
	v_mul_u32_u24_e32 v1, 0x13b2, v0
	v_lshrrev_b32_e32 v7, 16, v1
	s_waitcnt lgkmcnt(0)
	s_load_dwordx2 s[20:21], s[16:17], 0x0
	s_load_dwordx2 s[2:3], s[18:19], 0x0
	v_cmp_lt_u64_e64 s[0:1], s[14:15], 2
	v_mov_b32_e32 v3, 0
	v_mov_b32_e32 v1, 0
	v_lshl_add_u32 v5, s6, 2, v7
	v_mov_b32_e32 v6, v3
	s_and_b64 vcc, exec, s[0:1]
	v_mov_b32_e32 v2, 0
	s_cbranch_vccnz .LBB0_8
; %bb.1:
	s_load_dwordx2 s[0:1], s[4:5], 0x10
	s_add_u32 s6, s18, 8
	s_addc_u32 s7, s19, 0
	s_add_u32 s22, s16, 8
	v_mov_b32_e32 v1, 0
	s_addc_u32 s23, s17, 0
	v_mov_b32_e32 v2, 0
	s_waitcnt lgkmcnt(0)
	s_add_u32 s24, s0, 8
	v_mov_b32_e32 v53, v2
	s_addc_u32 s25, s1, 0
	s_mov_b64 s[26:27], 1
	v_mov_b32_e32 v52, v1
.LBB0_2:                                ; =>This Inner Loop Header: Depth=1
	s_load_dwordx2 s[28:29], s[24:25], 0x0
                                        ; implicit-def: $vgpr54_vgpr55
	s_waitcnt lgkmcnt(0)
	v_or_b32_e32 v4, s29, v6
	v_cmp_ne_u64_e32 vcc, 0, v[3:4]
	s_and_saveexec_b64 s[0:1], vcc
	s_xor_b64 s[30:31], exec, s[0:1]
	s_cbranch_execz .LBB0_4
; %bb.3:                                ;   in Loop: Header=BB0_2 Depth=1
	v_cvt_f32_u32_e32 v4, s28
	v_cvt_f32_u32_e32 v8, s29
	s_sub_u32 s0, 0, s28
	s_subb_u32 s1, 0, s29
	v_mac_f32_e32 v4, 0x4f800000, v8
	v_rcp_f32_e32 v4, v4
	v_mul_f32_e32 v4, 0x5f7ffffc, v4
	v_mul_f32_e32 v8, 0x2f800000, v4
	v_trunc_f32_e32 v8, v8
	v_mac_f32_e32 v4, 0xcf800000, v8
	v_cvt_u32_f32_e32 v8, v8
	v_cvt_u32_f32_e32 v4, v4
	v_mul_lo_u32 v9, s0, v8
	v_mul_hi_u32 v10, s0, v4
	v_mul_lo_u32 v12, s1, v4
	v_mul_lo_u32 v11, s0, v4
	v_add_u32_e32 v9, v10, v9
	v_add_u32_e32 v9, v9, v12
	v_mul_hi_u32 v10, v4, v11
	v_mul_lo_u32 v12, v4, v9
	v_mul_hi_u32 v14, v4, v9
	v_mul_hi_u32 v13, v8, v11
	v_mul_lo_u32 v11, v8, v11
	v_mul_hi_u32 v15, v8, v9
	v_add_co_u32_e32 v10, vcc, v10, v12
	v_addc_co_u32_e32 v12, vcc, 0, v14, vcc
	v_mul_lo_u32 v9, v8, v9
	v_add_co_u32_e32 v10, vcc, v10, v11
	v_addc_co_u32_e32 v10, vcc, v12, v13, vcc
	v_addc_co_u32_e32 v11, vcc, 0, v15, vcc
	v_add_co_u32_e32 v9, vcc, v10, v9
	v_addc_co_u32_e32 v10, vcc, 0, v11, vcc
	v_add_co_u32_e32 v4, vcc, v4, v9
	v_addc_co_u32_e32 v8, vcc, v8, v10, vcc
	v_mul_lo_u32 v9, s0, v8
	v_mul_hi_u32 v10, s0, v4
	v_mul_lo_u32 v11, s1, v4
	v_mul_lo_u32 v12, s0, v4
	v_add_u32_e32 v9, v10, v9
	v_add_u32_e32 v9, v9, v11
	v_mul_lo_u32 v13, v4, v9
	v_mul_hi_u32 v14, v4, v12
	v_mul_hi_u32 v15, v4, v9
	;; [unrolled: 1-line block ×3, first 2 shown]
	v_mul_lo_u32 v12, v8, v12
	v_mul_hi_u32 v10, v8, v9
	v_add_co_u32_e32 v13, vcc, v14, v13
	v_addc_co_u32_e32 v14, vcc, 0, v15, vcc
	v_mul_lo_u32 v9, v8, v9
	v_add_co_u32_e32 v12, vcc, v13, v12
	v_addc_co_u32_e32 v11, vcc, v14, v11, vcc
	v_addc_co_u32_e32 v10, vcc, 0, v10, vcc
	v_add_co_u32_e32 v9, vcc, v11, v9
	v_addc_co_u32_e32 v10, vcc, 0, v10, vcc
	v_add_co_u32_e32 v4, vcc, v4, v9
	v_addc_co_u32_e32 v10, vcc, v8, v10, vcc
	v_mad_u64_u32 v[8:9], s[0:1], v5, v10, 0
	v_mul_hi_u32 v11, v5, v4
	v_add_co_u32_e32 v12, vcc, v11, v8
	v_addc_co_u32_e32 v13, vcc, 0, v9, vcc
	v_mad_u64_u32 v[8:9], s[0:1], v6, v4, 0
	v_mad_u64_u32 v[10:11], s[0:1], v6, v10, 0
	v_add_co_u32_e32 v4, vcc, v12, v8
	v_addc_co_u32_e32 v4, vcc, v13, v9, vcc
	v_addc_co_u32_e32 v8, vcc, 0, v11, vcc
	v_add_co_u32_e32 v4, vcc, v4, v10
	v_addc_co_u32_e32 v10, vcc, 0, v8, vcc
	v_mul_lo_u32 v11, s29, v4
	v_mul_lo_u32 v12, s28, v10
	v_mad_u64_u32 v[8:9], s[0:1], s28, v4, 0
	v_add3_u32 v9, v9, v12, v11
	v_sub_u32_e32 v11, v6, v9
	v_mov_b32_e32 v12, s29
	v_sub_co_u32_e32 v8, vcc, v5, v8
	v_subb_co_u32_e64 v11, s[0:1], v11, v12, vcc
	v_subrev_co_u32_e64 v12, s[0:1], s28, v8
	v_subbrev_co_u32_e64 v11, s[0:1], 0, v11, s[0:1]
	v_cmp_le_u32_e64 s[0:1], s29, v11
	v_cndmask_b32_e64 v13, 0, -1, s[0:1]
	v_cmp_le_u32_e64 s[0:1], s28, v12
	v_cndmask_b32_e64 v12, 0, -1, s[0:1]
	v_cmp_eq_u32_e64 s[0:1], s29, v11
	v_cndmask_b32_e64 v11, v13, v12, s[0:1]
	v_add_co_u32_e64 v12, s[0:1], 2, v4
	v_addc_co_u32_e64 v13, s[0:1], 0, v10, s[0:1]
	v_add_co_u32_e64 v14, s[0:1], 1, v4
	v_addc_co_u32_e64 v15, s[0:1], 0, v10, s[0:1]
	v_subb_co_u32_e32 v9, vcc, v6, v9, vcc
	v_cmp_ne_u32_e64 s[0:1], 0, v11
	v_cmp_le_u32_e32 vcc, s29, v9
	v_cndmask_b32_e64 v11, v15, v13, s[0:1]
	v_cndmask_b32_e64 v13, 0, -1, vcc
	v_cmp_le_u32_e32 vcc, s28, v8
	v_cndmask_b32_e64 v8, 0, -1, vcc
	v_cmp_eq_u32_e32 vcc, s29, v9
	v_cndmask_b32_e32 v8, v13, v8, vcc
	v_cmp_ne_u32_e32 vcc, 0, v8
	v_cndmask_b32_e64 v8, v14, v12, s[0:1]
	v_cndmask_b32_e32 v55, v10, v11, vcc
	v_cndmask_b32_e32 v54, v4, v8, vcc
.LBB0_4:                                ;   in Loop: Header=BB0_2 Depth=1
	s_andn2_saveexec_b64 s[0:1], s[30:31]
	s_cbranch_execz .LBB0_6
; %bb.5:                                ;   in Loop: Header=BB0_2 Depth=1
	v_cvt_f32_u32_e32 v4, s28
	s_sub_i32 s30, 0, s28
	v_mov_b32_e32 v55, v3
	v_rcp_iflag_f32_e32 v4, v4
	v_mul_f32_e32 v4, 0x4f7ffffe, v4
	v_cvt_u32_f32_e32 v4, v4
	v_mul_lo_u32 v8, s30, v4
	v_mul_hi_u32 v8, v4, v8
	v_add_u32_e32 v4, v4, v8
	v_mul_hi_u32 v4, v5, v4
	v_mul_lo_u32 v8, v4, s28
	v_add_u32_e32 v9, 1, v4
	v_sub_u32_e32 v8, v5, v8
	v_subrev_u32_e32 v10, s28, v8
	v_cmp_le_u32_e32 vcc, s28, v8
	v_cndmask_b32_e32 v8, v8, v10, vcc
	v_cndmask_b32_e32 v4, v4, v9, vcc
	v_add_u32_e32 v9, 1, v4
	v_cmp_le_u32_e32 vcc, s28, v8
	v_cndmask_b32_e32 v54, v4, v9, vcc
.LBB0_6:                                ;   in Loop: Header=BB0_2 Depth=1
	s_or_b64 exec, exec, s[0:1]
	v_mul_lo_u32 v4, v55, s28
	v_mul_lo_u32 v10, v54, s29
	v_mad_u64_u32 v[8:9], s[0:1], v54, s28, 0
	s_load_dwordx2 s[0:1], s[22:23], 0x0
	s_load_dwordx2 s[28:29], s[6:7], 0x0
	v_add3_u32 v4, v9, v10, v4
	v_sub_co_u32_e32 v5, vcc, v5, v8
	v_subb_co_u32_e32 v4, vcc, v6, v4, vcc
	s_waitcnt lgkmcnt(0)
	v_mul_lo_u32 v6, s0, v4
	v_mul_lo_u32 v8, s1, v5
	v_mad_u64_u32 v[1:2], s[0:1], s0, v5, v[1:2]
	v_mul_lo_u32 v4, s28, v4
	v_mul_lo_u32 v9, s29, v5
	v_mad_u64_u32 v[52:53], s[0:1], s28, v5, v[52:53]
	s_add_u32 s26, s26, 1
	s_addc_u32 s27, s27, 0
	s_add_u32 s6, s6, 8
	v_add3_u32 v53, v9, v53, v4
	s_addc_u32 s7, s7, 0
	v_mov_b32_e32 v4, s14
	s_add_u32 s22, s22, 8
	v_mov_b32_e32 v5, s15
	s_addc_u32 s23, s23, 0
	v_cmp_ge_u64_e32 vcc, s[26:27], v[4:5]
	s_add_u32 s24, s24, 8
	v_add3_u32 v2, v8, v2, v6
	s_addc_u32 s25, s25, 0
	s_cbranch_vccnz .LBB0_9
; %bb.7:                                ;   in Loop: Header=BB0_2 Depth=1
	v_mov_b32_e32 v5, v54
	v_mov_b32_e32 v6, v55
	s_branch .LBB0_2
.LBB0_8:
	v_mov_b32_e32 v53, v2
	v_mov_b32_e32 v55, v6
	;; [unrolled: 1-line block ×4, first 2 shown]
.LBB0_9:
	s_load_dwordx2 s[0:1], s[4:5], 0x28
	s_lshl_b64 s[14:15], s[14:15], 3
	s_add_u32 s4, s18, s14
	s_addc_u32 s5, s19, s15
	v_and_b32_e32 v3, 3, v7
	s_waitcnt lgkmcnt(0)
	v_cmp_gt_u64_e32 vcc, s[0:1], v[54:55]
	v_cmp_le_u64_e64 s[0:1], s[0:1], v[54:55]
                                        ; implicit-def: $vgpr82
	s_and_saveexec_b64 s[6:7], s[0:1]
	s_xor_b64 s[0:1], exec, s[6:7]
; %bb.10:
	s_mov_b32 s6, 0x13b13b14
	v_mul_hi_u32 v1, v0, s6
	v_mul_u32_u24_e32 v1, 13, v1
	v_sub_u32_e32 v82, v0, v1
                                        ; implicit-def: $vgpr0
                                        ; implicit-def: $vgpr1_vgpr2
; %bb.11:
	s_or_saveexec_b64 s[6:7], s[0:1]
	v_mul_u32_u24_e32 v3, 0x82, v3
	v_lshlrev_b32_e32 v86, 4, v3
	s_xor_b64 exec, exec, s[6:7]
	s_cbranch_execz .LBB0_13
; %bb.12:
	s_add_u32 s0, s16, s14
	s_addc_u32 s1, s17, s15
	s_mov_b32 s14, 0x13b13b14
	v_mul_hi_u32 v3, v0, s14
	s_load_dwordx2 s[0:1], s[0:1], 0x0
	v_mul_u32_u24_e32 v3, 13, v3
	v_sub_u32_e32 v82, v0, v3
	s_waitcnt lgkmcnt(0)
	v_mul_lo_u32 v9, s1, v54
	v_mul_lo_u32 v10, s0, v55
	v_mad_u64_u32 v[5:6], s[0:1], s0, v54, 0
	v_mad_u64_u32 v[3:4], s[14:15], s20, v82, 0
	v_add3_u32 v6, v6, v10, v9
	v_lshlrev_b64 v[5:6], 4, v[5:6]
	v_mov_b32_e32 v0, v4
	v_mad_u64_u32 v[7:8], s[0:1], s21, v82, v[0:1]
	v_mov_b32_e32 v0, s9
	v_add_co_u32_e64 v5, s[0:1], s8, v5
	v_addc_co_u32_e64 v6, s[0:1], v0, v6, s[0:1]
	v_lshlrev_b64 v[0:1], 4, v[1:2]
	v_mov_b32_e32 v4, v7
	v_add_co_u32_e64 v44, s[0:1], v5, v0
	v_addc_co_u32_e64 v45, s[0:1], v6, v1, s[0:1]
	v_add_u32_e32 v6, 13, v82
	v_add_u32_e32 v8, 26, v82
	v_lshlrev_b64 v[0:1], 4, v[3:4]
	v_mad_u64_u32 v[2:3], s[0:1], s20, v6, 0
	v_mad_u64_u32 v[4:5], s[0:1], s20, v8, 0
	v_add_u32_e32 v16, 39, v82
	v_add_u32_e32 v20, 52, v82
	v_mad_u64_u32 v[6:7], s[0:1], s21, v6, v[3:4]
	v_mov_b32_e32 v3, v5
	v_mad_u64_u32 v[7:8], s[0:1], s21, v8, v[3:4]
	v_add_co_u32_e64 v8, s[0:1], v44, v0
	v_addc_co_u32_e64 v9, s[0:1], v45, v1, s[0:1]
	v_mov_b32_e32 v3, v6
	v_mad_u64_u32 v[12:13], s[0:1], s20, v16, 0
	v_lshlrev_b64 v[0:1], 4, v[2:3]
	v_mov_b32_e32 v5, v7
	v_add_co_u32_e64 v14, s[0:1], v44, v0
	v_lshlrev_b64 v[10:11], 4, v[4:5]
	v_addc_co_u32_e64 v15, s[0:1], v45, v1, s[0:1]
	global_load_dwordx4 v[0:3], v[8:9], off
	global_load_dwordx4 v[4:7], v[14:15], off
	v_mov_b32_e32 v8, v13
	v_mad_u64_u32 v[8:9], s[0:1], s21, v16, v[8:9]
	v_add_co_u32_e64 v16, s[0:1], v44, v10
	v_mov_b32_e32 v13, v8
	v_lshlrev_b64 v[8:9], 4, v[12:13]
	v_addc_co_u32_e64 v17, s[0:1], v45, v11, s[0:1]
	v_add_co_u32_e64 v18, s[0:1], v44, v8
	v_addc_co_u32_e64 v19, s[0:1], v45, v9, s[0:1]
	v_add_u32_e32 v22, 0x41, v82
	global_load_dwordx4 v[8:11], v[16:17], off
	global_load_dwordx4 v[12:15], v[18:19], off
	v_mad_u64_u32 v[16:17], s[0:1], s20, v20, 0
	v_mad_u64_u32 v[18:19], s[0:1], s20, v22, 0
	v_add_u32_e32 v33, 0x5b, v82
	v_add_u32_e32 v42, 0x75, v82
	v_mad_u64_u32 v[20:21], s[0:1], s21, v20, v[17:18]
	v_mov_b32_e32 v17, v19
	v_mad_u64_u32 v[21:22], s[0:1], s21, v22, v[17:18]
	v_mov_b32_e32 v17, v20
	v_lshlrev_b64 v[16:17], 4, v[16:17]
	v_add_u32_e32 v22, 0x4e, v82
	v_add_co_u32_e64 v24, s[0:1], v44, v16
	v_addc_co_u32_e64 v25, s[0:1], v45, v17, s[0:1]
	v_mad_u64_u32 v[26:27], s[0:1], s20, v22, 0
	v_mov_b32_e32 v19, v21
	v_lshlrev_b64 v[16:17], 4, v[18:19]
	v_add_co_u32_e64 v28, s[0:1], v44, v16
	v_mov_b32_e32 v16, v27
	v_addc_co_u32_e64 v29, s[0:1], v45, v17, s[0:1]
	v_mad_u64_u32 v[30:31], s[0:1], s21, v22, v[16:17]
	v_mad_u64_u32 v[31:32], s[0:1], s20, v33, 0
	v_mov_b32_e32 v27, v30
	global_load_dwordx4 v[16:19], v[24:25], off
	global_load_dwordx4 v[20:23], v[28:29], off
	v_lshlrev_b64 v[24:25], 4, v[26:27]
	v_mov_b32_e32 v26, v32
	v_mad_u64_u32 v[26:27], s[0:1], s21, v33, v[26:27]
	v_add_co_u32_e64 v33, s[0:1], v44, v24
	v_mov_b32_e32 v32, v26
	v_add_u32_e32 v26, 0x68, v82
	v_addc_co_u32_e64 v34, s[0:1], v45, v25, s[0:1]
	v_mad_u64_u32 v[35:36], s[0:1], s20, v26, 0
	v_lshlrev_b64 v[24:25], 4, v[31:32]
	v_add_co_u32_e64 v37, s[0:1], v44, v24
	v_mov_b32_e32 v24, v36
	v_addc_co_u32_e64 v38, s[0:1], v45, v25, s[0:1]
	v_mad_u64_u32 v[39:40], s[0:1], s21, v26, v[24:25]
	v_mad_u64_u32 v[40:41], s[0:1], s20, v42, 0
	global_load_dwordx4 v[24:27], v[33:34], off
	global_load_dwordx4 v[28:31], v[37:38], off
	v_mov_b32_e32 v36, v39
	v_mov_b32_e32 v34, v41
	v_lshlrev_b64 v[32:33], 4, v[35:36]
	v_mad_u64_u32 v[34:35], s[0:1], s21, v42, v[34:35]
	v_add_co_u32_e64 v42, s[0:1], v44, v32
	v_mov_b32_e32 v41, v34
	v_addc_co_u32_e64 v43, s[0:1], v45, v33, s[0:1]
	v_lshlrev_b64 v[32:33], 4, v[40:41]
	v_add_co_u32_e64 v40, s[0:1], v44, v32
	v_addc_co_u32_e64 v41, s[0:1], v45, v33, s[0:1]
	global_load_dwordx4 v[32:35], v[42:43], off
	global_load_dwordx4 v[36:39], v[40:41], off
	v_lshlrev_b32_e32 v40, 4, v82
	v_add3_u32 v40, 0, v86, v40
	s_waitcnt vmcnt(9)
	ds_write_b128 v40, v[0:3]
	s_waitcnt vmcnt(8)
	ds_write_b128 v40, v[4:7] offset:208
	s_waitcnt vmcnt(7)
	ds_write_b128 v40, v[8:11] offset:416
	;; [unrolled: 2-line block ×9, first 2 shown]
.LBB0_13:
	s_or_b64 exec, exec, s[6:7]
	v_add_u32_e32 v83, 0, v86
	v_lshlrev_b32_e32 v0, 4, v82
	v_add_u32_e32 v85, v83, v0
	s_waitcnt lgkmcnt(0)
	; wave barrier
	s_waitcnt lgkmcnt(0)
	v_add3_u32 v84, 0, v0, v86
	ds_read_b128 v[0:3], v85
	ds_read_b128 v[36:39], v84 offset:160
	ds_read_b128 v[40:43], v84 offset:320
	;; [unrolled: 1-line block ×12, first 2 shown]
	v_cmp_gt_u32_e64 s[0:1], 10, v82
	s_waitcnt lgkmcnt(0)
	; wave barrier
	s_waitcnt lgkmcnt(0)
	s_and_saveexec_b64 s[6:7], s[0:1]
	s_cbranch_execz .LBB0_15
; %bb.14:
	v_add_f64 v[62:63], v[2:3], v[38:39]
	v_add_f64 v[64:65], v[0:1], v[36:37]
	;; [unrolled: 1-line block ×3, first 2 shown]
	v_add_f64 v[70:71], v[46:47], -v[34:35]
	v_add_f64 v[80:81], v[38:39], v[14:15]
	s_mov_b32 s0, 0x93053d00
	s_mov_b32 s1, 0xbfef11f4
	;; [unrolled: 1-line block ×3, first 2 shown]
	v_add_f64 v[74:75], v[62:63], v[42:43]
	v_add_f64 v[78:79], v[64:65], v[40:41]
	v_add_f64 v[64:65], v[44:45], -v[32:33]
	v_add_f64 v[62:63], v[44:45], v[32:33]
	s_mov_b32 s8, 0x4bc48dbf
	s_mov_b32 s21, 0x3fec55a7
	;; [unrolled: 1-line block ×3, first 2 shown]
	v_add_f64 v[76:77], v[50:51], v[30:31]
	v_add_f64 v[87:88], v[74:75], v[50:51]
	;; [unrolled: 1-line block ×4, first 2 shown]
	v_add_f64 v[74:75], v[50:51], -v[30:31]
	v_add_f64 v[50:51], v[40:41], -v[24:25]
	s_mov_b32 s30, 0x4267c47c
	s_mov_b32 s31, 0xbfddbe06
	v_add_f64 v[38:39], v[38:39], -v[14:15]
	v_add_f64 v[46:47], v[87:88], v[46:47]
	v_add_f64 v[87:88], v[89:90], v[44:45]
	v_add_f64 v[44:45], v[42:43], -v[26:27]
	v_add_f64 v[42:43], v[36:37], -v[12:13]
	v_mul_f64 v[89:90], v[80:81], s[0:1]
	v_mul_f64 v[91:92], v[78:79], s[20:21]
	s_mov_b32 s14, 0xd0032e0c
	s_mov_b32 s15, 0xbfe7f3cc
	v_add_f64 v[46:47], v[46:47], v[18:19]
	v_add_f64 v[87:88], v[87:88], v[16:17]
	s_mov_b32 s19, 0xbfcea1e5
	s_mov_b32 s18, s8
	v_fma_f64 v[93:94], v[42:43], s[8:9], v[89:90]
	v_fma_f64 v[97:98], v[50:51], s[30:31], v[91:92]
	v_add_f64 v[68:69], v[48:49], -v[28:29]
	v_add_f64 v[36:37], v[36:37], v[12:13]
	v_add_f64 v[46:47], v[46:47], v[6:7]
	;; [unrolled: 1-line block ×3, first 2 shown]
	v_mul_f64 v[95:96], v[76:77], s[14:15]
	s_mov_b32 s16, 0x24c2f84
	v_add_f64 v[93:94], v[2:3], v[93:94]
	s_mov_b32 s24, 0x1ea71119
	s_mov_b32 s17, 0x3fe5384d
	;; [unrolled: 1-line block ×3, first 2 shown]
	v_add_f64 v[46:47], v[46:47], v[10:11]
	v_add_f64 v[87:88], v[87:88], v[8:9]
	s_mov_b32 s37, 0x3fddbe06
	s_mov_b32 s36, s30
	v_add_f64 v[93:94], v[97:98], v[93:94]
	v_mul_f64 v[97:98], v[38:39], s[18:19]
	v_add_f64 v[66:67], v[18:19], v[22:23]
	v_add_f64 v[40:41], v[40:41], v[24:25]
	;; [unrolled: 1-line block ×4, first 2 shown]
	v_fma_f64 v[99:100], v[68:69], s[16:17], v[95:96]
	v_mul_f64 v[101:102], v[72:73], s[24:25]
	s_mov_b32 s40, 0x42a4c3d2
	s_mov_b32 s22, 0xb2365da1
	;; [unrolled: 1-line block ×4, first 2 shown]
	v_add_f64 v[34:35], v[46:47], v[34:35]
	v_add_f64 v[32:33], v[87:88], v[32:33]
	v_fma_f64 v[46:47], v[36:37], s[0:1], v[97:98]
	v_mul_f64 v[87:88], v[44:45], s[36:37]
	s_mov_b32 s27, 0xbfe5384d
	s_mov_b32 s26, s16
	v_add_f64 v[60:61], v[16:17], -v[20:21]
	v_add_f64 v[48:49], v[48:49], v[28:29]
	v_add_f64 v[93:94], v[99:100], v[93:94]
	v_fma_f64 v[99:100], v[64:65], s[40:41], v[101:102]
	v_mul_f64 v[103:104], v[66:67], s[22:23]
	v_add_f64 v[46:47], v[0:1], v[46:47]
	v_fma_f64 v[105:106], v[40:41], s[20:21], v[87:88]
	v_mul_f64 v[107:108], v[74:75], s[26:27]
	v_add_f64 v[30:31], v[34:35], v[30:31]
	v_add_f64 v[32:33], v[32:33], v[28:29]
	s_mov_b32 s28, 0x2ef20147
	s_mov_b32 s29, 0x3fedeba7
	;; [unrolled: 1-line block ×4, first 2 shown]
	v_add_f64 v[58:59], v[6:7], v[10:11]
	v_add_f64 v[56:57], v[4:5], -v[8:9]
	v_add_f64 v[34:35], v[99:100], v[93:94]
	v_fma_f64 v[93:94], v[60:61], s[28:29], v[103:104]
	v_add_f64 v[46:47], v[105:106], v[46:47]
	v_fma_f64 v[99:100], v[48:49], s[14:15], v[107:108]
	v_mul_f64 v[105:106], v[70:71], s[34:35]
	v_add_f64 v[28:29], v[4:5], v[8:9]
	v_add_f64 v[22:23], v[18:19], -v[22:23]
	v_add_f64 v[4:5], v[30:31], v[26:27]
	v_add_f64 v[8:9], v[32:33], v[24:25]
	v_fma_f64 v[26:27], v[42:43], s[18:19], v[89:90]
	v_fma_f64 v[32:33], v[36:37], s[0:1], -v[97:98]
	s_mov_b32 s42, 0xebaa3ed8
	s_mov_b32 s39, 0xbfedeba7
	;; [unrolled: 1-line block ×4, first 2 shown]
	v_add_f64 v[20:21], v[16:17], v[20:21]
	v_add_f64 v[16:17], v[93:94], v[34:35]
	v_add_f64 v[18:19], v[99:100], v[46:47]
	v_fma_f64 v[24:25], v[62:63], s[24:25], v[105:106]
	v_mul_f64 v[30:31], v[22:23], s[38:39]
	v_mul_f64 v[34:35], v[58:59], s[42:43]
	v_fma_f64 v[46:47], v[50:51], s[36:37], v[91:92]
	v_add_f64 v[26:27], v[2:3], v[26:27]
	v_fma_f64 v[87:88], v[40:41], s[20:21], -v[87:88]
	v_add_f64 v[32:33], v[0:1], v[32:33]
	s_mov_b32 s46, 0x66966769
	s_mov_b32 s47, 0xbfefc445
	v_add_f64 v[18:19], v[24:25], v[18:19]
	v_fma_f64 v[89:90], v[20:21], s[22:23], v[30:31]
	v_fma_f64 v[91:92], v[56:57], s[46:47], v[34:35]
	v_add_f64 v[26:27], v[46:47], v[26:27]
	v_fma_f64 v[46:47], v[68:69], s[26:27], v[95:96]
	v_add_f64 v[24:25], v[6:7], -v[10:11]
	v_add_f64 v[10:11], v[4:5], v[14:15]
	v_add_f64 v[4:5], v[87:88], v[32:33]
	v_fma_f64 v[14:15], v[48:49], s[14:15], -v[107:108]
	v_add_f64 v[8:9], v[8:9], v[12:13]
	v_add_f64 v[12:13], v[89:90], v[18:19]
	;; [unrolled: 1-line block ×4, first 2 shown]
	v_fma_f64 v[18:19], v[64:65], s[34:35], v[101:102]
	v_mul_f64 v[26:27], v[80:81], s[14:15]
	v_mul_f64 v[32:33], v[38:39], s[26:27]
	v_add_f64 v[4:5], v[14:15], v[4:5]
	v_fma_f64 v[14:15], v[62:63], s[24:25], -v[105:106]
	s_mov_b32 s45, 0x3fefc445
	s_mov_b32 s44, s46
	v_mul_f64 v[46:47], v[24:25], s[44:45]
	v_add_f64 v[16:17], v[18:19], v[16:17]
	v_fma_f64 v[18:19], v[60:61], s[38:39], v[103:104]
	v_fma_f64 v[87:88], v[42:43], s[16:17], v[26:27]
	v_mul_f64 v[89:90], v[78:79], s[42:43]
	v_add_f64 v[4:5], v[14:15], v[4:5]
	v_fma_f64 v[14:15], v[20:21], s[22:23], -v[30:31]
	v_fma_f64 v[30:31], v[36:37], s[14:15], v[32:33]
	v_mul_f64 v[91:92], v[44:45], s[44:45]
	v_fma_f64 v[93:94], v[28:29], s[42:43], v[46:47]
	v_add_f64 v[16:17], v[18:19], v[16:17]
	v_add_f64 v[18:19], v[2:3], v[87:88]
	v_fma_f64 v[87:88], v[50:51], s[46:47], v[89:90]
	v_mul_f64 v[95:96], v[76:77], s[24:25]
	v_add_f64 v[97:98], v[14:15], v[4:5]
	v_add_f64 v[14:15], v[0:1], v[30:31]
	v_fma_f64 v[30:31], v[40:41], s[42:43], v[91:92]
	v_mul_f64 v[99:100], v[74:75], s[40:41]
	v_fma_f64 v[34:35], v[56:57], s[44:45], v[34:35]
	v_fma_f64 v[46:47], v[28:29], s[42:43], -v[46:47]
	v_add_f64 v[18:19], v[87:88], v[18:19]
	v_fma_f64 v[87:88], v[68:69], s[34:35], v[95:96]
	v_add_f64 v[4:5], v[93:94], v[12:13]
	v_mul_f64 v[93:94], v[72:73], s[0:1]
	v_add_f64 v[30:31], v[30:31], v[14:15]
	v_fma_f64 v[101:102], v[48:49], s[24:25], v[99:100]
	v_mul_f64 v[103:104], v[70:71], s[8:9]
	v_add_f64 v[14:15], v[34:35], v[16:17]
	v_add_f64 v[12:13], v[46:47], v[97:98]
	;; [unrolled: 1-line block ×3, first 2 shown]
	v_fma_f64 v[18:19], v[42:43], s[26:27], v[26:27]
	v_fma_f64 v[26:27], v[64:65], s[18:19], v[93:94]
	v_mul_f64 v[34:35], v[66:67], s[20:21]
	v_add_f64 v[30:31], v[101:102], v[30:31]
	v_fma_f64 v[46:47], v[62:63], s[0:1], v[103:104]
	v_fma_f64 v[32:33], v[36:37], s[14:15], -v[32:33]
	v_mul_f64 v[87:88], v[22:23], s[36:37]
	v_fma_f64 v[89:90], v[50:51], s[44:45], v[89:90]
	v_add_f64 v[18:19], v[2:3], v[18:19]
	v_add_f64 v[16:17], v[26:27], v[16:17]
	v_fma_f64 v[26:27], v[60:61], s[30:31], v[34:35]
	v_mul_f64 v[97:98], v[58:59], s[22:23]
	v_add_f64 v[30:31], v[46:47], v[30:31]
	v_fma_f64 v[46:47], v[40:41], s[42:43], -v[91:92]
	v_add_f64 v[32:33], v[0:1], v[32:33]
	v_fma_f64 v[91:92], v[20:21], s[20:21], v[87:88]
	v_add_f64 v[18:19], v[89:90], v[18:19]
	v_fma_f64 v[89:90], v[68:69], s[40:41], v[95:96]
	;; [unrolled: 2-line block ×3, first 2 shown]
	v_mul_f64 v[95:96], v[80:81], s[22:23]
	v_mul_f64 v[101:102], v[24:25], s[38:39]
	v_add_f64 v[32:33], v[46:47], v[32:33]
	v_fma_f64 v[46:47], v[48:49], s[24:25], -v[99:100]
	v_add_f64 v[30:31], v[91:92], v[30:31]
	v_add_f64 v[89:90], v[89:90], v[18:19]
	v_fma_f64 v[91:92], v[64:65], s[8:9], v[93:94]
	v_add_f64 v[18:19], v[26:27], v[16:17]
	v_fma_f64 v[16:17], v[42:43], s[28:29], v[95:96]
	v_mul_f64 v[26:27], v[78:79], s[14:15]
	v_fma_f64 v[93:94], v[28:29], s[22:23], v[101:102]
	v_add_f64 v[32:33], v[46:47], v[32:33]
	v_fma_f64 v[46:47], v[62:63], s[0:1], -v[103:104]
	v_mul_f64 v[99:100], v[38:39], s[38:39]
	v_add_f64 v[89:90], v[91:92], v[89:90]
	v_fma_f64 v[34:35], v[60:61], s[36:37], v[34:35]
	v_add_f64 v[91:92], v[2:3], v[16:17]
	v_fma_f64 v[103:104], v[50:51], s[26:27], v[26:27]
	v_mul_f64 v[105:106], v[76:77], s[20:21]
	v_add_f64 v[16:17], v[93:94], v[30:31]
	v_add_f64 v[30:31], v[46:47], v[32:33]
	v_fma_f64 v[32:33], v[36:37], s[22:23], v[99:100]
	v_mul_f64 v[46:47], v[44:45], s[16:17]
	v_fma_f64 v[87:88], v[20:21], s[20:21], -v[87:88]
	v_add_f64 v[34:35], v[34:35], v[89:90]
	v_add_f64 v[89:90], v[103:104], v[91:92]
	v_fma_f64 v[91:92], v[68:69], s[30:31], v[105:106]
	v_mul_f64 v[93:94], v[72:73], s[42:43]
	v_fma_f64 v[97:98], v[56:57], s[38:39], v[97:98]
	v_add_f64 v[103:104], v[0:1], v[32:33]
	v_fma_f64 v[107:108], v[40:41], s[14:15], v[46:47]
	v_add_f64 v[30:31], v[87:88], v[30:31]
	v_mul_f64 v[87:88], v[74:75], s[36:37]
	v_fma_f64 v[101:102], v[28:29], s[22:23], -v[101:102]
	v_add_f64 v[89:90], v[91:92], v[89:90]
	v_fma_f64 v[91:92], v[64:65], s[44:45], v[93:94]
	v_mul_f64 v[109:110], v[66:67], s[0:1]
	v_add_f64 v[32:33], v[97:98], v[34:35]
	v_add_f64 v[34:35], v[107:108], v[103:104]
	v_fma_f64 v[95:96], v[42:43], s[38:39], v[95:96]
	v_fma_f64 v[97:98], v[48:49], s[20:21], v[87:88]
	v_mul_f64 v[103:104], v[70:71], s[46:47]
	v_fma_f64 v[99:100], v[36:37], s[22:23], -v[99:100]
	v_add_f64 v[30:31], v[101:102], v[30:31]
	v_add_f64 v[89:90], v[91:92], v[89:90]
	v_fma_f64 v[91:92], v[60:61], s[18:19], v[109:110]
	v_fma_f64 v[26:27], v[50:51], s[16:17], v[26:27]
	v_add_f64 v[95:96], v[2:3], v[95:96]
	v_add_f64 v[34:35], v[97:98], v[34:35]
	v_fma_f64 v[97:98], v[62:63], s[42:43], v[103:104]
	v_mul_f64 v[101:102], v[22:23], s[8:9]
	v_fma_f64 v[46:47], v[40:41], s[14:15], -v[46:47]
	v_add_f64 v[99:100], v[0:1], v[99:100]
	v_mul_f64 v[107:108], v[58:59], s[24:25]
	v_add_f64 v[89:90], v[91:92], v[89:90]
	v_add_f64 v[26:27], v[26:27], v[95:96]
	v_fma_f64 v[91:92], v[68:69], s[36:37], v[105:106]
	v_add_f64 v[34:35], v[97:98], v[34:35]
	v_fma_f64 v[95:96], v[20:21], s[0:1], v[101:102]
	v_mul_f64 v[105:106], v[80:81], s[42:43]
	v_add_f64 v[46:47], v[46:47], v[99:100]
	v_fma_f64 v[87:88], v[48:49], s[20:21], -v[87:88]
	v_fma_f64 v[97:98], v[56:57], s[40:41], v[107:108]
	v_mul_f64 v[99:100], v[24:25], s[34:35]
	v_add_f64 v[26:27], v[91:92], v[26:27]
	v_fma_f64 v[91:92], v[64:65], s[46:47], v[93:94]
	v_add_f64 v[34:35], v[95:96], v[34:35]
	v_fma_f64 v[93:94], v[42:43], s[44:45], v[105:106]
	v_mul_f64 v[95:96], v[78:79], s[0:1]
	v_add_f64 v[46:47], v[87:88], v[46:47]
	v_fma_f64 v[87:88], v[62:63], s[42:43], -v[103:104]
	v_add_f64 v[89:90], v[97:98], v[89:90]
	v_fma_f64 v[97:98], v[28:29], s[24:25], v[99:100]
	v_add_f64 v[26:27], v[91:92], v[26:27]
	v_mul_f64 v[91:92], v[38:39], s[46:47]
	v_fma_f64 v[103:104], v[60:61], s[8:9], v[109:110]
	v_add_f64 v[93:94], v[2:3], v[93:94]
	v_fma_f64 v[109:110], v[50:51], s[8:9], v[95:96]
	v_mul_f64 v[111:112], v[76:77], s[22:23]
	v_add_f64 v[46:47], v[87:88], v[46:47]
	v_fma_f64 v[101:102], v[20:21], s[0:1], -v[101:102]
	v_add_f64 v[87:88], v[97:98], v[34:35]
	v_fma_f64 v[34:35], v[36:37], s[42:43], v[91:92]
	v_mul_f64 v[97:98], v[44:45], s[18:19]
	v_add_f64 v[26:27], v[103:104], v[26:27]
	v_add_f64 v[93:94], v[109:110], v[93:94]
	v_fma_f64 v[103:104], v[68:69], s[38:39], v[111:112]
	v_mul_f64 v[109:110], v[72:73], s[20:21]
	v_add_f64 v[46:47], v[101:102], v[46:47]
	v_fma_f64 v[101:102], v[56:57], s[34:35], v[107:108]
	v_add_f64 v[34:35], v[0:1], v[34:35]
	v_fma_f64 v[107:108], v[40:41], s[0:1], v[97:98]
	v_mul_f64 v[113:114], v[74:75], s[28:29]
	v_mul_f64 v[117:118], v[66:67], s[24:25]
	v_add_f64 v[103:104], v[103:104], v[93:94]
	v_fma_f64 v[115:116], v[64:65], s[30:31], v[109:110]
	v_fma_f64 v[91:92], v[36:37], s[42:43], -v[91:92]
	v_add_f64 v[93:94], v[101:102], v[26:27]
	v_fma_f64 v[26:27], v[42:43], s[46:47], v[105:106]
	v_fma_f64 v[99:100], v[28:29], s[24:25], -v[99:100]
	v_add_f64 v[34:35], v[107:108], v[34:35]
	v_fma_f64 v[101:102], v[48:49], s[22:23], v[113:114]
	v_mul_f64 v[105:106], v[70:71], s[36:37]
	v_add_f64 v[103:104], v[115:116], v[103:104]
	v_fma_f64 v[107:108], v[60:61], s[34:35], v[117:118]
	v_fma_f64 v[95:96], v[50:51], s[18:19], v[95:96]
	v_add_f64 v[26:27], v[2:3], v[26:27]
	v_fma_f64 v[97:98], v[40:41], s[0:1], -v[97:98]
	v_add_f64 v[115:116], v[0:1], v[91:92]
	v_add_f64 v[34:35], v[101:102], v[34:35]
	v_fma_f64 v[101:102], v[62:63], s[20:21], v[105:106]
	v_mul_f64 v[119:120], v[22:23], s[40:41]
	v_add_f64 v[91:92], v[99:100], v[46:47]
	v_add_f64 v[46:47], v[107:108], v[103:104]
	;; [unrolled: 1-line block ×3, first 2 shown]
	v_fma_f64 v[95:96], v[68:69], s[28:29], v[111:112]
	v_add_f64 v[97:98], v[97:98], v[115:116]
	v_fma_f64 v[99:100], v[48:49], s[22:23], -v[113:114]
	v_mul_f64 v[107:108], v[80:81], s[24:25]
	v_add_f64 v[34:35], v[101:102], v[34:35]
	v_fma_f64 v[101:102], v[20:21], s[24:25], v[119:120]
	v_mul_f64 v[103:104], v[58:59], s[14:15]
	v_fma_f64 v[115:116], v[60:61], s[40:41], v[117:118]
	v_add_f64 v[26:27], v[95:96], v[26:27]
	v_fma_f64 v[95:96], v[64:65], s[36:37], v[109:110]
	v_add_f64 v[97:98], v[99:100], v[97:98]
	v_fma_f64 v[99:100], v[62:63], s[20:21], -v[105:106]
	v_fma_f64 v[105:106], v[42:43], s[34:35], v[107:108]
	v_mul_f64 v[109:110], v[78:79], s[22:23]
	v_add_f64 v[34:35], v[101:102], v[34:35]
	v_fma_f64 v[101:102], v[56:57], s[16:17], v[103:104]
	v_mul_f64 v[123:124], v[76:77], s[0:1]
	v_add_f64 v[26:27], v[95:96], v[26:27]
	v_mul_f64 v[111:112], v[24:25], s[26:27]
	v_add_f64 v[99:100], v[99:100], v[97:98]
	v_add_f64 v[105:106], v[2:3], v[105:106]
	v_fma_f64 v[121:122], v[50:51], s[28:29], v[109:110]
	v_fma_f64 v[103:104], v[56:57], s[26:27], v[103:104]
	v_add_f64 v[97:98], v[101:102], v[46:47]
	v_mul_f64 v[117:118], v[38:39], s[40:41]
	v_add_f64 v[26:27], v[115:116], v[26:27]
	v_fma_f64 v[113:114], v[28:29], s[14:15], v[111:112]
	v_fma_f64 v[119:120], v[20:21], s[24:25], -v[119:120]
	v_mul_f64 v[46:47], v[44:45], s[38:39]
	v_add_f64 v[101:102], v[121:122], v[105:106]
	v_fma_f64 v[105:106], v[68:69], s[8:9], v[123:124]
	v_fma_f64 v[109:110], v[50:51], s[38:39], v[109:110]
	v_fma_f64 v[111:112], v[28:29], s[14:15], -v[111:112]
	v_mul_f64 v[80:81], v[80:81], s[20:21]
	v_add_f64 v[95:96], v[113:114], v[34:35]
	v_fma_f64 v[34:35], v[36:37], s[24:25], v[117:118]
	v_add_f64 v[99:100], v[119:120], v[99:100]
	v_mul_f64 v[113:114], v[72:73], s[14:15]
	v_add_f64 v[105:106], v[105:106], v[101:102]
	v_add_f64 v[101:102], v[103:104], v[26:27]
	v_fma_f64 v[26:27], v[42:43], s[40:41], v[107:108]
	v_fma_f64 v[103:104], v[36:37], s[24:25], -v[117:118]
	v_fma_f64 v[115:116], v[40:41], s[22:23], v[46:47]
	v_add_f64 v[34:35], v[0:1], v[34:35]
	v_mul_f64 v[119:120], v[74:75], s[18:19]
	v_fma_f64 v[46:47], v[40:41], s[22:23], -v[46:47]
	v_add_f64 v[99:100], v[111:112], v[99:100]
	v_mul_f64 v[111:112], v[70:71], s[16:17]
	v_add_f64 v[26:27], v[2:3], v[26:27]
	v_add_f64 v[103:104], v[0:1], v[103:104]
	v_mul_f64 v[117:118], v[22:23], s[44:45]
	v_add_f64 v[34:35], v[115:116], v[34:35]
	v_mul_f64 v[115:116], v[66:67], s[42:43]
	v_mul_f64 v[38:39], v[38:39], s[30:31]
	v_fma_f64 v[121:122], v[64:65], s[26:27], v[113:114]
	v_mul_f64 v[78:79], v[78:79], s[24:25]
	v_add_f64 v[26:27], v[109:110], v[26:27]
	v_fma_f64 v[109:110], v[68:69], s[18:19], v[123:124]
	v_add_f64 v[46:47], v[46:47], v[103:104]
	v_fma_f64 v[103:104], v[48:49], s[0:1], -v[119:120]
	v_mul_f64 v[44:45], v[44:45], s[40:41]
	v_fma_f64 v[107:108], v[48:49], s[0:1], v[119:120]
	v_mul_f64 v[76:77], v[76:77], s[42:43]
	v_mul_f64 v[74:75], v[74:75], s[46:47]
	;; [unrolled: 1-line block ×3, first 2 shown]
	v_add_f64 v[26:27], v[109:110], v[26:27]
	v_fma_f64 v[109:110], v[64:65], s[16:17], v[113:114]
	v_add_f64 v[46:47], v[103:104], v[46:47]
	v_fma_f64 v[103:104], v[62:63], s[14:15], -v[111:112]
	v_fma_f64 v[113:114], v[42:43], s[30:31], v[80:81]
	v_fma_f64 v[42:43], v[42:43], s[36:37], v[80:81]
	v_add_f64 v[34:35], v[107:108], v[34:35]
	v_fma_f64 v[107:108], v[62:63], s[14:15], v[111:112]
	v_mul_f64 v[22:23], v[22:23], s[26:27]
	v_add_f64 v[26:27], v[109:110], v[26:27]
	v_fma_f64 v[109:110], v[60:61], s[44:45], v[115:116]
	v_add_f64 v[46:47], v[103:104], v[46:47]
	v_fma_f64 v[103:104], v[20:21], s[42:43], -v[117:118]
	v_mul_f64 v[111:112], v[24:25], s[36:37]
	v_mul_f64 v[24:25], v[24:25], s[18:19]
	v_add_f64 v[34:35], v[107:108], v[34:35]
	v_fma_f64 v[107:108], v[20:21], s[42:43], v[117:118]
	v_add_f64 v[105:106], v[121:122], v[105:106]
	v_add_f64 v[26:27], v[109:110], v[26:27]
	v_fma_f64 v[109:110], v[36:37], s[20:21], -v[38:39]
	v_fma_f64 v[36:37], v[36:37], s[20:21], v[38:39]
	v_add_f64 v[46:47], v[103:104], v[46:47]
	v_add_f64 v[103:104], v[2:3], v[113:114]
	v_fma_f64 v[113:114], v[50:51], s[40:41], v[78:79]
	v_add_f64 v[2:3], v[2:3], v[42:43]
	v_mul_f64 v[42:43], v[72:73], s[22:23]
	v_add_f64 v[34:35], v[107:108], v[34:35]
	v_add_f64 v[80:81], v[0:1], v[109:110]
	v_fma_f64 v[109:110], v[40:41], s[24:25], -v[44:45]
	v_add_f64 v[0:1], v[0:1], v[36:37]
	v_fma_f64 v[36:37], v[50:51], s[34:35], v[78:79]
	v_fma_f64 v[40:41], v[40:41], s[24:25], v[44:45]
	v_add_f64 v[38:39], v[113:114], v[103:104]
	v_fma_f64 v[103:104], v[68:69], s[46:47], v[76:77]
	v_mul_f64 v[44:45], v[70:71], s[38:39]
	v_fma_f64 v[68:69], v[68:69], s[44:45], v[76:77]
	v_add_f64 v[72:73], v[109:110], v[80:81]
	v_fma_f64 v[80:81], v[48:49], s[42:43], -v[74:75]
	v_add_f64 v[2:3], v[36:37], v[2:3]
	v_fma_f64 v[36:37], v[48:49], s[42:43], v[74:75]
	v_add_f64 v[0:1], v[40:41], v[0:1]
	v_add_f64 v[38:39], v[103:104], v[38:39]
	v_fma_f64 v[50:51], v[64:65], s[38:39], v[42:43]
	v_fma_f64 v[40:41], v[62:63], s[22:23], -v[44:45]
	v_fma_f64 v[44:45], v[62:63], s[22:23], v[44:45]
	v_add_f64 v[70:71], v[80:81], v[72:73]
	v_fma_f64 v[42:43], v[64:65], s[28:29], v[42:43]
	v_add_f64 v[2:3], v[68:69], v[2:3]
	v_add_f64 v[0:1], v[36:37], v[0:1]
	v_mul_f64 v[107:108], v[58:59], s[20:21]
	v_add_f64 v[38:39], v[50:51], v[38:39]
	v_fma_f64 v[48:49], v[60:61], s[26:27], v[66:67]
	v_mul_f64 v[50:51], v[58:59], s[0:1]
	v_add_f64 v[36:37], v[40:41], v[70:71]
	v_fma_f64 v[40:41], v[20:21], s[14:15], -v[22:23]
	v_fma_f64 v[20:21], v[20:21], s[14:15], v[22:23]
	v_add_f64 v[0:1], v[44:45], v[0:1]
	v_fma_f64 v[121:122], v[60:61], s[46:47], v[115:116]
	v_fma_f64 v[58:59], v[60:61], s[16:17], v[66:67]
	v_add_f64 v[2:3], v[42:43], v[2:3]
	v_fma_f64 v[115:116], v[56:57], s[30:31], v[107:108]
	v_fma_f64 v[107:108], v[56:57], s[36:37], v[107:108]
	v_add_f64 v[38:39], v[48:49], v[38:39]
	v_add_f64 v[36:37], v[40:41], v[36:37]
	v_fma_f64 v[40:41], v[56:57], s[18:19], v[50:51]
	v_fma_f64 v[42:43], v[28:29], s[0:1], -v[24:25]
	v_fma_f64 v[117:118], v[28:29], s[20:21], v[111:112]
	v_fma_f64 v[111:112], v[28:29], s[20:21], -v[111:112]
	v_fma_f64 v[44:45], v[56:57], s[8:9], v[50:51]
	v_fma_f64 v[28:29], v[28:29], s[0:1], v[24:25]
	v_add_f64 v[50:51], v[20:21], v[0:1]
	v_add_f64 v[105:106], v[121:122], v[105:106]
	;; [unrolled: 1-line block ×9, first 2 shown]
	v_mul_u32_u24_e32 v28, 0xd0, v82
	v_add3_u32 v28, 0, v28, v86
	v_add_f64 v[2:3], v[115:116], v[105:106]
	v_add_f64 v[36:37], v[44:45], v[48:49]
	ds_write_b128 v28, v[8:11]
	ds_write_b128 v28, v[24:27] offset:16
	ds_write_b128 v28, v[20:23] offset:32
	;; [unrolled: 1-line block ×12, first 2 shown]
.LBB0_15:
	s_or_b64 exec, exec, s[6:7]
	v_mul_u32_u24_e32 v0, 9, v82
	v_lshlrev_b32_e32 v36, 4, v0
	s_load_dwordx2 s[0:1], s[4:5], 0x0
	s_waitcnt lgkmcnt(0)
	; wave barrier
	s_waitcnt lgkmcnt(0)
	global_load_dwordx4 v[0:3], v36, s[12:13]
	global_load_dwordx4 v[4:7], v36, s[12:13] offset:16
	global_load_dwordx4 v[8:11], v36, s[12:13] offset:32
	;; [unrolled: 1-line block ×8, first 2 shown]
	ds_read_b128 v[36:39], v85
	ds_read_b128 v[40:43], v84 offset:208
	ds_read_b128 v[44:47], v84 offset:416
	;; [unrolled: 1-line block ×9, first 2 shown]
	s_mov_b32 s4, 0x134454ff
	s_mov_b32 s5, 0x3fee6f0e
	;; [unrolled: 1-line block ×12, first 2 shown]
	s_waitcnt lgkmcnt(0)
	; wave barrier
	s_waitcnt vmcnt(8) lgkmcnt(0)
	v_mul_f64 v[80:81], v[42:43], v[2:3]
	v_mul_f64 v[2:3], v[40:41], v[2:3]
	s_waitcnt vmcnt(7)
	v_mul_f64 v[85:86], v[46:47], v[6:7]
	v_mul_f64 v[6:7], v[44:45], v[6:7]
	s_waitcnt vmcnt(6)
	v_mul_f64 v[87:88], v[50:51], v[10:11]
	v_mul_f64 v[10:11], v[48:49], v[10:11]
	s_waitcnt vmcnt(5)
	v_mul_f64 v[89:90], v[58:59], v[14:15]
	v_mul_f64 v[14:15], v[56:57], v[14:15]
	s_waitcnt vmcnt(4)
	v_mul_f64 v[91:92], v[62:63], v[18:19]
	v_mul_f64 v[18:19], v[60:61], v[18:19]
	s_waitcnt vmcnt(3)
	v_mul_f64 v[93:94], v[66:67], v[22:23]
	v_mul_f64 v[22:23], v[64:65], v[22:23]
	s_waitcnt vmcnt(2)
	v_mul_f64 v[95:96], v[70:71], v[26:27]
	v_mul_f64 v[26:27], v[68:69], v[26:27]
	s_waitcnt vmcnt(1)
	v_mul_f64 v[97:98], v[74:75], v[30:31]
	v_mul_f64 v[30:31], v[72:73], v[30:31]
	s_waitcnt vmcnt(0)
	v_mul_f64 v[99:100], v[78:79], v[34:35]
	v_mul_f64 v[34:35], v[76:77], v[34:35]
	v_fma_f64 v[40:41], v[40:41], v[0:1], -v[80:81]
	v_fma_f64 v[0:1], v[42:43], v[0:1], v[2:3]
	v_fma_f64 v[2:3], v[44:45], v[4:5], -v[85:86]
	v_fma_f64 v[4:5], v[46:47], v[4:5], v[6:7]
	;; [unrolled: 2-line block ×6, first 2 shown]
	v_fma_f64 v[22:23], v[74:75], v[28:29], v[30:31]
	v_fma_f64 v[30:31], v[68:69], v[24:25], -v[95:96]
	v_fma_f64 v[24:25], v[70:71], v[24:25], v[26:27]
	v_fma_f64 v[26:27], v[72:73], v[28:29], -v[97:98]
	v_fma_f64 v[28:29], v[76:77], v[32:33], -v[99:100]
	v_fma_f64 v[32:33], v[78:79], v[32:33], v[34:35]
	v_add_f64 v[34:35], v[36:37], v[2:3]
	v_add_f64 v[42:43], v[10:11], v[18:19]
	v_add_f64 v[48:49], v[2:3], -v[10:11]
	v_add_f64 v[62:63], v[38:39], v[4:5]
	v_add_f64 v[64:65], v[12:13], v[20:21]
	v_add_f64 v[50:51], v[26:27], -v[18:19]
	v_add_f64 v[56:57], v[2:3], v[26:27]
	v_add_f64 v[44:45], v[4:5], -v[22:23]
	v_add_f64 v[46:47], v[12:13], -v[20:21]
	v_add_f64 v[58:59], v[10:11], -v[2:3]
	v_add_f64 v[60:61], v[18:19], -v[26:27]
	v_add_f64 v[2:3], v[2:3], -v[26:27]
	v_add_f64 v[66:67], v[10:11], -v[18:19]
	v_add_f64 v[68:69], v[4:5], -v[12:13]
	v_add_f64 v[72:73], v[4:5], v[22:23]
	v_add_f64 v[4:5], v[12:13], -v[4:5]
	v_add_f64 v[78:79], v[14:15], v[30:31]
	v_add_f64 v[10:11], v[34:35], v[10:11]
	v_fma_f64 v[34:35], v[42:43], -0.5, v[36:37]
	v_add_f64 v[42:43], v[48:49], v[50:51]
	v_fma_f64 v[36:37], v[56:57], -0.5, v[36:37]
	;; [unrolled: 2-line block ×3, first 2 shown]
	v_add_f64 v[70:71], v[22:23], -v[20:21]
	v_add_f64 v[74:75], v[20:21], -v[22:23]
	v_add_f64 v[76:77], v[40:41], v[6:7]
	v_add_f64 v[80:81], v[8:9], -v[32:33]
	v_add_f64 v[48:49], v[58:59], v[60:61]
	v_fma_f64 v[38:39], v[72:73], -0.5, v[38:39]
	v_fma_f64 v[60:61], v[78:79], -0.5, v[40:41]
	v_add_f64 v[10:11], v[10:11], v[18:19]
	v_fma_f64 v[18:19], v[44:45], s[4:5], v[34:35]
	v_fma_f64 v[34:35], v[44:45], s[12:13], v[34:35]
	;; [unrolled: 1-line block ×4, first 2 shown]
	v_add_f64 v[12:13], v[12:13], v[20:21]
	v_fma_f64 v[20:21], v[2:3], s[12:13], v[50:51]
	v_fma_f64 v[50:51], v[2:3], s[4:5], v[50:51]
	v_add_f64 v[85:86], v[16:17], -v[24:25]
	v_add_f64 v[87:88], v[6:7], -v[14:15]
	v_add_f64 v[89:90], v[28:29], -v[30:31]
	v_add_f64 v[91:92], v[6:7], v[28:29]
	v_add_f64 v[56:57], v[68:69], v[70:71]
	;; [unrolled: 1-line block ×3, first 2 shown]
	v_fma_f64 v[64:65], v[66:67], s[4:5], v[38:39]
	v_fma_f64 v[38:39], v[66:67], s[12:13], v[38:39]
	;; [unrolled: 1-line block ×3, first 2 shown]
	v_add_f64 v[26:27], v[10:11], v[26:27]
	v_fma_f64 v[10:11], v[46:47], s[6:7], v[18:19]
	v_fma_f64 v[18:19], v[46:47], s[14:15], v[34:35]
	;; [unrolled: 1-line block ×5, first 2 shown]
	v_add_f64 v[22:23], v[12:13], v[22:23]
	v_fma_f64 v[12:13], v[66:67], s[6:7], v[50:51]
	v_fma_f64 v[44:45], v[2:3], s[14:15], v[64:65]
	;; [unrolled: 1-line block ×7, first 2 shown]
	v_add_f64 v[4:5], v[4:5], v[74:75]
	v_fma_f64 v[50:51], v[56:57], s[8:9], v[12:13]
	v_fma_f64 v[10:11], v[91:92], -0.5, v[40:41]
	v_fma_f64 v[2:3], v[2:3], s[6:7], v[38:39]
	v_add_f64 v[12:13], v[58:59], v[30:31]
	v_fma_f64 v[18:19], v[85:86], s[6:7], v[68:69]
	v_add_f64 v[20:21], v[87:88], v[89:90]
	v_add_f64 v[38:39], v[16:17], v[24:25]
	v_fma_f64 v[40:41], v[4:5], s[8:9], v[44:45]
	v_fma_f64 v[44:45], v[80:81], s[12:13], v[60:61]
	;; [unrolled: 1-line block ×4, first 2 shown]
	v_add_f64 v[60:61], v[12:13], v[28:29]
	v_add_f64 v[2:3], v[8:9], v[32:33]
	v_fma_f64 v[4:5], v[20:21], s[8:9], v[18:19]
	v_fma_f64 v[12:13], v[38:39], -0.5, v[0:1]
	v_add_f64 v[18:19], v[6:7], -v[28:29]
	v_fma_f64 v[38:39], v[85:86], s[14:15], v[44:45]
	v_fma_f64 v[44:45], v[80:81], s[6:7], v[56:57]
	v_add_f64 v[56:57], v[0:1], v[8:9]
	v_add_f64 v[62:63], v[14:15], -v[30:31]
	v_fma_f64 v[0:1], v[2:3], -0.5, v[0:1]
	v_add_f64 v[2:3], v[14:15], -v[6:7]
	v_add_f64 v[6:7], v[30:31], -v[28:29]
	v_fma_f64 v[14:15], v[18:19], s[12:13], v[12:13]
	v_add_f64 v[28:29], v[8:9], -v[16:17]
	v_add_f64 v[30:31], v[32:33], -v[24:25]
	v_fma_f64 v[10:11], v[85:86], s[4:5], v[10:11]
	v_add_f64 v[56:57], v[56:57], v[16:17]
	v_fma_f64 v[64:65], v[62:63], s[4:5], v[0:1]
	v_add_f64 v[8:9], v[16:17], -v[8:9]
	v_add_f64 v[16:17], v[24:25], -v[32:33]
	v_fma_f64 v[14:15], v[62:63], s[14:15], v[14:15]
	v_fma_f64 v[12:13], v[18:19], s[4:5], v[12:13]
	v_add_f64 v[28:29], v[28:29], v[30:31]
	v_fma_f64 v[0:1], v[62:63], s[12:13], v[0:1]
	v_add_f64 v[2:3], v[2:3], v[6:7]
	v_fma_f64 v[6:7], v[80:81], s[14:15], v[10:11]
	v_fma_f64 v[10:11], v[18:19], s[14:15], v[64:65]
	v_add_f64 v[8:9], v[8:9], v[16:17]
	v_add_f64 v[16:17], v[56:57], v[24:25]
	v_fma_f64 v[12:13], v[62:63], s[6:7], v[12:13]
	v_fma_f64 v[14:15], v[28:29], s[8:9], v[14:15]
	;; [unrolled: 1-line block ×7, first 2 shown]
	v_add_f64 v[30:31], v[16:17], v[32:33]
	v_fma_f64 v[10:11], v[28:29], s[8:9], v[12:13]
	v_mul_f64 v[12:13], v[14:15], s[6:7]
	v_fma_f64 v[8:9], v[8:9], s[8:9], v[0:1]
	v_mul_f64 v[28:29], v[18:19], s[16:17]
	v_mul_f64 v[38:39], v[20:21], s[12:13]
	;; [unrolled: 1-line block ×4, first 2 shown]
	v_add_f64 v[0:1], v[26:27], v[60:61]
	v_mul_f64 v[56:57], v[10:11], s[16:17]
	v_fma_f64 v[32:33], v[4:5], s[16:17], v[12:13]
	v_mul_f64 v[12:13], v[4:5], s[14:15]
	v_mul_f64 v[44:45], v[8:9], s[8:9]
	v_fma_f64 v[38:39], v[6:7], s[8:9], v[38:39]
	v_fma_f64 v[64:65], v[8:9], s[4:5], -v[24:25]
	v_fma_f64 v[62:63], v[20:21], s[8:9], v[16:17]
	v_fma_f64 v[66:67], v[10:11], s[6:7], -v[28:29]
	v_fma_f64 v[56:57], v[18:19], s[14:15], -v[56:57]
	v_add_f64 v[4:5], v[46:47], v[32:33]
	v_fma_f64 v[68:69], v[14:15], s[16:17], v[12:13]
	v_fma_f64 v[44:45], v[2:3], s[12:13], -v[44:45]
	v_add_f64 v[2:3], v[22:23], v[30:31]
	v_add_f64 v[10:11], v[40:41], v[38:39]
	;; [unrolled: 1-line block ×8, first 2 shown]
	v_add_f64 v[20:21], v[26:27], -v[60:61]
	v_add_f64 v[22:23], v[22:23], -v[30:31]
	v_add_f64 v[24:25], v[46:47], -v[32:33]
	v_add_f64 v[26:27], v[48:49], -v[68:69]
	v_add_f64 v[28:29], v[34:35], -v[62:63]
	v_add_f64 v[30:31], v[40:41], -v[38:39]
	v_add_f64 v[32:33], v[36:37], -v[64:65]
	v_add_f64 v[36:37], v[42:43], -v[66:67]
	v_add_f64 v[34:35], v[58:59], -v[44:45]
	v_add_f64 v[38:39], v[50:51], -v[56:57]
	ds_write_b128 v84, v[0:3]
	ds_write_b128 v84, v[4:7] offset:208
	ds_write_b128 v84, v[8:11] offset:416
	;; [unrolled: 1-line block ×9, first 2 shown]
	s_waitcnt lgkmcnt(0)
	; wave barrier
	s_waitcnt lgkmcnt(0)
	s_and_saveexec_b64 s[4:5], vcc
	s_cbranch_execz .LBB0_17
; %bb.16:
	v_mul_lo_u32 v2, s1, v54
	v_mul_lo_u32 v3, s0, v55
	v_mad_u64_u32 v[6:7], s[0:1], s0, v54, 0
	v_mad_u64_u32 v[4:5], s[4:5], s2, v82, 0
	v_add3_u32 v7, v7, v3, v2
	v_lshlrev_b64 v[6:7], 4, v[6:7]
	v_mov_b32_e32 v0, v5
	v_mad_u64_u32 v[0:1], s[0:1], s3, v82, v[0:1]
	v_mov_b32_e32 v8, s11
	v_add_co_u32_e32 v10, vcc, s10, v6
	v_add_u32_e32 v12, 13, v82
	v_addc_co_u32_e32 v11, vcc, v8, v7, vcc
	v_mad_u64_u32 v[8:9], s[0:1], s2, v12, 0
	v_lshl_add_u32 v13, v82, 4, v83
	v_lshlrev_b64 v[6:7], 4, v[52:53]
	v_mov_b32_e32 v5, v0
	ds_read_b128 v[0:3], v13
	v_add_co_u32_e32 v14, vcc, v10, v6
	v_lshlrev_b64 v[4:5], 4, v[4:5]
	v_mov_b32_e32 v6, v9
	v_addc_co_u32_e32 v15, vcc, v11, v7, vcc
	v_mad_u64_u32 v[9:10], s[0:1], s3, v12, v[6:7]
	v_add_co_u32_e32 v10, vcc, v14, v4
	v_addc_co_u32_e32 v11, vcc, v15, v5, vcc
	ds_read_b128 v[4:7], v13 offset:208
	s_waitcnt lgkmcnt(1)
	global_store_dwordx4 v[10:11], v[0:3], off
	s_nop 0
	v_add_u32_e32 v2, 26, v82
	v_lshlrev_b64 v[0:1], 4, v[8:9]
	v_mad_u64_u32 v[8:9], s[0:1], s2, v2, 0
	v_add_co_u32_e32 v0, vcc, v14, v0
	v_addc_co_u32_e32 v1, vcc, v15, v1, vcc
	s_waitcnt lgkmcnt(0)
	global_store_dwordx4 v[0:1], v[4:7], off
	v_mov_b32_e32 v0, v9
	v_add_u32_e32 v7, 39, v82
	v_mad_u64_u32 v[0:1], s[0:1], s3, v2, v[0:1]
	v_mad_u64_u32 v[10:11], s[0:1], s2, v7, 0
	v_mov_b32_e32 v9, v0
	ds_read_b128 v[0:3], v13 offset:416
	v_mov_b32_e32 v6, v11
	v_lshlrev_b64 v[4:5], 4, v[8:9]
	v_mad_u64_u32 v[8:9], s[0:1], s3, v7, v[6:7]
	v_add_co_u32_e32 v11, vcc, v14, v4
	v_addc_co_u32_e32 v12, vcc, v15, v5, vcc
	ds_read_b128 v[4:7], v13 offset:624
	s_waitcnt lgkmcnt(1)
	global_store_dwordx4 v[11:12], v[0:3], off
	v_mov_b32_e32 v11, v8
	v_add_u32_e32 v2, 52, v82
	v_lshlrev_b64 v[0:1], 4, v[10:11]
	v_mad_u64_u32 v[8:9], s[0:1], s2, v2, 0
	v_add_co_u32_e32 v0, vcc, v14, v0
	v_addc_co_u32_e32 v1, vcc, v15, v1, vcc
	s_waitcnt lgkmcnt(0)
	global_store_dwordx4 v[0:1], v[4:7], off
	v_mov_b32_e32 v0, v9
	v_add_u32_e32 v7, 0x41, v82
	v_mad_u64_u32 v[0:1], s[0:1], s3, v2, v[0:1]
	v_mad_u64_u32 v[10:11], s[0:1], s2, v7, 0
	v_mov_b32_e32 v9, v0
	ds_read_b128 v[0:3], v13 offset:832
	v_mov_b32_e32 v6, v11
	v_lshlrev_b64 v[4:5], 4, v[8:9]
	v_mad_u64_u32 v[8:9], s[0:1], s3, v7, v[6:7]
	v_add_co_u32_e32 v11, vcc, v14, v4
	v_addc_co_u32_e32 v12, vcc, v15, v5, vcc
	ds_read_b128 v[4:7], v13 offset:1040
	s_waitcnt lgkmcnt(1)
	global_store_dwordx4 v[11:12], v[0:3], off
	v_mov_b32_e32 v11, v8
	;; [unrolled: 22-line block ×4, first 2 shown]
	v_lshlrev_b64 v[0:1], 4, v[10:11]
	v_add_co_u32_e32 v0, vcc, v14, v0
	v_addc_co_u32_e32 v1, vcc, v15, v1, vcc
	s_waitcnt lgkmcnt(0)
	global_store_dwordx4 v[0:1], v[4:7], off
.LBB0_17:
	s_endpgm
	.section	.rodata,"a",@progbits
	.p2align	6, 0x0
	.amdhsa_kernel fft_rtc_fwd_len130_factors_13_10_wgs_52_tpt_13_dp_op_CI_CI_sbrr_dirReg
		.amdhsa_group_segment_fixed_size 0
		.amdhsa_private_segment_fixed_size 0
		.amdhsa_kernarg_size 104
		.amdhsa_user_sgpr_count 6
		.amdhsa_user_sgpr_private_segment_buffer 1
		.amdhsa_user_sgpr_dispatch_ptr 0
		.amdhsa_user_sgpr_queue_ptr 0
		.amdhsa_user_sgpr_kernarg_segment_ptr 1
		.amdhsa_user_sgpr_dispatch_id 0
		.amdhsa_user_sgpr_flat_scratch_init 0
		.amdhsa_user_sgpr_private_segment_size 0
		.amdhsa_uses_dynamic_stack 0
		.amdhsa_system_sgpr_private_segment_wavefront_offset 0
		.amdhsa_system_sgpr_workgroup_id_x 1
		.amdhsa_system_sgpr_workgroup_id_y 0
		.amdhsa_system_sgpr_workgroup_id_z 0
		.amdhsa_system_sgpr_workgroup_info 0
		.amdhsa_system_vgpr_workitem_id 0
		.amdhsa_next_free_vgpr 125
		.amdhsa_next_free_sgpr 48
		.amdhsa_reserve_vcc 1
		.amdhsa_reserve_flat_scratch 0
		.amdhsa_float_round_mode_32 0
		.amdhsa_float_round_mode_16_64 0
		.amdhsa_float_denorm_mode_32 3
		.amdhsa_float_denorm_mode_16_64 3
		.amdhsa_dx10_clamp 1
		.amdhsa_ieee_mode 1
		.amdhsa_fp16_overflow 0
		.amdhsa_exception_fp_ieee_invalid_op 0
		.amdhsa_exception_fp_denorm_src 0
		.amdhsa_exception_fp_ieee_div_zero 0
		.amdhsa_exception_fp_ieee_overflow 0
		.amdhsa_exception_fp_ieee_underflow 0
		.amdhsa_exception_fp_ieee_inexact 0
		.amdhsa_exception_int_div_zero 0
	.end_amdhsa_kernel
	.text
.Lfunc_end0:
	.size	fft_rtc_fwd_len130_factors_13_10_wgs_52_tpt_13_dp_op_CI_CI_sbrr_dirReg, .Lfunc_end0-fft_rtc_fwd_len130_factors_13_10_wgs_52_tpt_13_dp_op_CI_CI_sbrr_dirReg
                                        ; -- End function
	.section	.AMDGPU.csdata,"",@progbits
; Kernel info:
; codeLenInByte = 8488
; NumSgprs: 52
; NumVgprs: 125
; ScratchSize: 0
; MemoryBound: 0
; FloatMode: 240
; IeeeMode: 1
; LDSByteSize: 0 bytes/workgroup (compile time only)
; SGPRBlocks: 6
; VGPRBlocks: 31
; NumSGPRsForWavesPerEU: 52
; NumVGPRsForWavesPerEU: 125
; Occupancy: 2
; WaveLimiterHint : 1
; COMPUTE_PGM_RSRC2:SCRATCH_EN: 0
; COMPUTE_PGM_RSRC2:USER_SGPR: 6
; COMPUTE_PGM_RSRC2:TRAP_HANDLER: 0
; COMPUTE_PGM_RSRC2:TGID_X_EN: 1
; COMPUTE_PGM_RSRC2:TGID_Y_EN: 0
; COMPUTE_PGM_RSRC2:TGID_Z_EN: 0
; COMPUTE_PGM_RSRC2:TIDIG_COMP_CNT: 0
	.type	__hip_cuid_d58ab98ee76ff5bb,@object ; @__hip_cuid_d58ab98ee76ff5bb
	.section	.bss,"aw",@nobits
	.globl	__hip_cuid_d58ab98ee76ff5bb
__hip_cuid_d58ab98ee76ff5bb:
	.byte	0                               ; 0x0
	.size	__hip_cuid_d58ab98ee76ff5bb, 1

	.ident	"AMD clang version 19.0.0git (https://github.com/RadeonOpenCompute/llvm-project roc-6.4.0 25133 c7fe45cf4b819c5991fe208aaa96edf142730f1d)"
	.section	".note.GNU-stack","",@progbits
	.addrsig
	.addrsig_sym __hip_cuid_d58ab98ee76ff5bb
	.amdgpu_metadata
---
amdhsa.kernels:
  - .args:
      - .actual_access:  read_only
        .address_space:  global
        .offset:         0
        .size:           8
        .value_kind:     global_buffer
      - .offset:         8
        .size:           8
        .value_kind:     by_value
      - .actual_access:  read_only
        .address_space:  global
        .offset:         16
        .size:           8
        .value_kind:     global_buffer
      - .actual_access:  read_only
        .address_space:  global
        .offset:         24
        .size:           8
        .value_kind:     global_buffer
      - .actual_access:  read_only
        .address_space:  global
        .offset:         32
        .size:           8
        .value_kind:     global_buffer
      - .offset:         40
        .size:           8
        .value_kind:     by_value
      - .actual_access:  read_only
        .address_space:  global
        .offset:         48
        .size:           8
        .value_kind:     global_buffer
      - .actual_access:  read_only
        .address_space:  global
        .offset:         56
        .size:           8
        .value_kind:     global_buffer
      - .offset:         64
        .size:           4
        .value_kind:     by_value
      - .actual_access:  read_only
        .address_space:  global
        .offset:         72
        .size:           8
        .value_kind:     global_buffer
      - .actual_access:  read_only
        .address_space:  global
        .offset:         80
        .size:           8
        .value_kind:     global_buffer
      - .actual_access:  read_only
        .address_space:  global
        .offset:         88
        .size:           8
        .value_kind:     global_buffer
      - .actual_access:  write_only
        .address_space:  global
        .offset:         96
        .size:           8
        .value_kind:     global_buffer
    .group_segment_fixed_size: 0
    .kernarg_segment_align: 8
    .kernarg_segment_size: 104
    .language:       OpenCL C
    .language_version:
      - 2
      - 0
    .max_flat_workgroup_size: 52
    .name:           fft_rtc_fwd_len130_factors_13_10_wgs_52_tpt_13_dp_op_CI_CI_sbrr_dirReg
    .private_segment_fixed_size: 0
    .sgpr_count:     52
    .sgpr_spill_count: 0
    .symbol:         fft_rtc_fwd_len130_factors_13_10_wgs_52_tpt_13_dp_op_CI_CI_sbrr_dirReg.kd
    .uniform_work_group_size: 1
    .uses_dynamic_stack: false
    .vgpr_count:     125
    .vgpr_spill_count: 0
    .wavefront_size: 64
amdhsa.target:   amdgcn-amd-amdhsa--gfx906
amdhsa.version:
  - 1
  - 2
...

	.end_amdgpu_metadata
